;; amdgpu-corpus repo=ROCm/rocFFT kind=compiled arch=gfx1201 opt=O3
	.text
	.amdgcn_target "amdgcn-amd-amdhsa--gfx1201"
	.amdhsa_code_object_version 6
	.protected	fft_rtc_back_len100_factors_10_10_wgs_190_tpt_10_dim2_dp_ip_CI_sbcc_twdbase8_3step_dirReg_intrinsicReadWrite ; -- Begin function fft_rtc_back_len100_factors_10_10_wgs_190_tpt_10_dim2_dp_ip_CI_sbcc_twdbase8_3step_dirReg_intrinsicReadWrite
	.globl	fft_rtc_back_len100_factors_10_10_wgs_190_tpt_10_dim2_dp_ip_CI_sbcc_twdbase8_3step_dirReg_intrinsicReadWrite
	.p2align	8
	.type	fft_rtc_back_len100_factors_10_10_wgs_190_tpt_10_dim2_dp_ip_CI_sbcc_twdbase8_3step_dirReg_intrinsicReadWrite,@function
fft_rtc_back_len100_factors_10_10_wgs_190_tpt_10_dim2_dp_ip_CI_sbcc_twdbase8_3step_dirReg_intrinsicReadWrite: ; @fft_rtc_back_len100_factors_10_10_wgs_190_tpt_10_dim2_dp_ip_CI_sbcc_twdbase8_3step_dirReg_intrinsicReadWrite
; %bb.0:
	s_load_b128 s[4:7], s[0:1], 0x10
	s_mov_b32 s11, 0
	s_mov_b32 s2, 0x50d6f500
	;; [unrolled: 1-line block ×4, first 2 shown]
	s_delay_alu instid0(SALU_CYCLE_1) | instskip(SKIP_3) | instid1(SALU_CYCLE_1)
	s_add_nc_u64 s[8:9], s[10:11], s[2:3]
	s_movk_i32 s2, 0xffed
	s_mov_b32 s3, -1
	s_add_co_i32 s9, s9, 0xd794330
	s_mul_u64 s[12:13], s[8:9], s[2:3]
	s_delay_alu instid0(SALU_CYCLE_1)
	s_mul_hi_u32 s10, s8, s12
	s_mul_i32 s15, s9, s12
	s_mul_hi_u32 s14, s9, s12
	s_mul_hi_u32 s16, s9, s13
	s_mul_i32 s12, s9, s13
	s_wait_kmcnt 0x0
	s_load_b64 s[2:3], s[4:5], 0x8
	s_mul_hi_u32 s5, s8, s13
	s_mul_i32 s4, s8, s13
	s_delay_alu instid0(SALU_CYCLE_1) | instskip(NEXT) | instid1(SALU_CYCLE_1)
	s_add_nc_u64 s[4:5], s[10:11], s[4:5]
	s_add_co_u32 s4, s4, s15
	s_add_co_ci_u32 s10, s5, s14
	s_add_co_ci_u32 s13, s16, 0
	s_delay_alu instid0(SALU_CYCLE_1) | instskip(NEXT) | instid1(SALU_CYCLE_1)
	s_add_nc_u64 s[4:5], s[10:11], s[12:13]
	v_add_co_u32 v1, s4, s8, s4
	s_delay_alu instid0(VALU_DEP_1) | instskip(SKIP_1) | instid1(VALU_DEP_1)
	s_cmp_lg_u32 s4, 0
	s_add_co_ci_u32 s12, s9, s5
	v_readfirstlane_b32 s13, v1
	s_wait_kmcnt 0x0
	s_add_nc_u64 s[4:5], s[2:3], -1
	s_wait_alu 0xfffe
	s_mul_hi_u32 s9, s4, s12
	s_mul_i32 s8, s4, s12
	s_mul_hi_u32 s10, s4, s13
	s_mul_hi_u32 s15, s5, s13
	s_mul_i32 s13, s5, s13
	s_wait_alu 0xfffe
	s_add_nc_u64 s[8:9], s[10:11], s[8:9]
	s_mul_hi_u32 s14, s5, s12
	s_wait_alu 0xfffe
	s_add_co_u32 s8, s8, s13
	s_add_co_ci_u32 s10, s9, s15
	s_mul_i32 s12, s5, s12
	s_add_co_ci_u32 s13, s14, 0
	s_delay_alu instid0(SALU_CYCLE_1) | instskip(NEXT) | instid1(SALU_CYCLE_1)
	s_add_nc_u64 s[12:13], s[10:11], s[12:13]
	s_mul_u64 s[8:9], s[12:13], 19
	s_wait_alu 0xfffe
	v_sub_co_u32 v1, s4, s4, s8
	s_delay_alu instid0(VALU_DEP_1) | instskip(SKIP_1) | instid1(VALU_DEP_1)
	s_cmp_lg_u32 s4, 0
	s_sub_co_ci_u32 s10, s5, s9
	v_sub_co_u32 v2, s8, v1, 19
	s_delay_alu instid0(VALU_DEP_1) | instskip(SKIP_2) | instid1(VALU_DEP_2)
	s_cmp_lg_u32 s8, 0
	v_readfirstlane_b32 s15, v1
	s_sub_co_ci_u32 s8, s10, 0
	v_readfirstlane_b32 s4, v2
	s_delay_alu instid0(VALU_DEP_1)
	s_cmp_gt_u32 s4, 18
	s_add_nc_u64 s[4:5], s[12:13], 1
	s_cselect_b32 s14, -1, 0
	s_wait_alu 0xfffe
	s_cmp_eq_u32 s8, 0
	s_add_nc_u64 s[8:9], s[12:13], 2
	s_cselect_b32 s14, s14, -1
	s_delay_alu instid0(SALU_CYCLE_1)
	s_cmp_lg_u32 s14, 0
	s_wait_alu 0xfffe
	s_cselect_b32 s14, s8, s4
	s_cselect_b32 s16, s9, s5
	s_cmp_gt_u32 s15, 18
	s_load_b64 s[4:5], s[0:1], 0x50
	s_cselect_b32 s8, -1, 0
	s_cmp_eq_u32 s10, 0
	s_wait_alu 0xfffe
	s_cselect_b32 s10, s8, -1
	s_load_b64 s[8:9], s[6:7], 0x0
	s_cmp_lg_u32 s10, 0
	s_mov_b32 s10, ttmp9
	s_cselect_b32 s13, s16, s13
	s_cselect_b32 s12, s14, s12
	s_mov_b64 s[14:15], 0
	s_add_nc_u64 s[12:13], s[12:13], 1
	s_wait_kmcnt 0x0
	v_cmp_lt_u64_e64 s9, s[10:11], s[12:13]
	s_delay_alu instid0(VALU_DEP_1)
	s_and_b32 vcc_lo, exec_lo, s9
	s_cbranch_vccnz .LBB0_2
; %bb.1:
	v_cvt_f32_u32_e32 v1, s12
	s_sub_co_i32 s14, 0, s12
	s_delay_alu instid0(VALU_DEP_1) | instskip(NEXT) | instid1(TRANS32_DEP_1)
	v_rcp_iflag_f32_e32 v1, v1
	v_mul_f32_e32 v1, 0x4f7ffffe, v1
	s_delay_alu instid0(VALU_DEP_1) | instskip(NEXT) | instid1(VALU_DEP_1)
	v_cvt_u32_f32_e32 v1, v1
	v_readfirstlane_b32 s9, v1
	s_delay_alu instid0(VALU_DEP_1) | instskip(NEXT) | instid1(SALU_CYCLE_1)
	s_mul_i32 s14, s14, s9
	s_mul_hi_u32 s14, s9, s14
	s_delay_alu instid0(SALU_CYCLE_1)
	s_add_co_i32 s9, s9, s14
	s_wait_alu 0xfffe
	s_mul_hi_u32 s9, s10, s9
	s_wait_alu 0xfffe
	s_mul_i32 s14, s9, s12
	s_add_co_i32 s15, s9, 1
	s_sub_co_i32 s14, s10, s14
	s_delay_alu instid0(SALU_CYCLE_1)
	s_sub_co_i32 s16, s14, s12
	s_cmp_ge_u32 s14, s12
	s_cselect_b32 s9, s15, s9
	s_cselect_b32 s14, s16, s14
	s_wait_alu 0xfffe
	s_add_co_i32 s15, s9, 1
	s_cmp_ge_u32 s14, s12
	s_cselect_b32 s14, s15, s9
	s_mov_b32 s15, s11
.LBB0_2:
	v_mul_u32_u24_e32 v1, 0xd7a, v0
	s_load_b128 s[16:19], s[6:7], 0x8
	s_mul_u64 s[6:7], s[14:15], s[12:13]
	v_mov_b32_e32 v7, 0
	s_sub_nc_u64 s[6:7], s[10:11], s[6:7]
	v_lshrrev_b32_e32 v41, 16, v1
	s_mul_u64 s[6:7], s[6:7], 19
	s_delay_alu instid0(SALU_CYCLE_1) | instskip(NEXT) | instid1(VALU_DEP_1)
	s_add_nc_u64 s[10:11], s[6:7], 19
	v_mul_lo_u16 v1, v41, 19
	s_delay_alu instid0(VALU_DEP_1) | instskip(NEXT) | instid1(VALU_DEP_1)
	v_sub_nc_u16 v1, v0, v1
	v_and_b32_e32 v42, 0xffff, v1
	s_wait_kmcnt 0x0
	s_delay_alu instid0(VALU_DEP_1) | instskip(NEXT) | instid1(VALU_DEP_1)
	v_mad_co_u64_u32 v[73:74], null, s16, v42, 0
	v_dual_mov_b32 v8, 0 :: v_dual_mov_b32 v1, v74
	v_add_co_u32 v74, s9, s6, v42
	s_wait_alu 0xf1ff
	v_add_co_ci_u32_e64 v75, null, s7, 0, s9
	s_wait_alu 0xfffe
	v_cmp_le_u64_e64 s9, s[10:11], s[2:3]
	v_mad_co_u64_u32 v[1:2], null, s17, v42, v[1:2]
	s_delay_alu instid0(VALU_DEP_3)
	v_cmp_gt_u64_e32 vcc_lo, s[2:3], v[74:75]
	v_dual_mov_b32 v3, v7 :: v_dual_mov_b32 v4, v8
	v_dual_mov_b32 v1, v7 :: v_dual_mov_b32 v2, v8
	s_mul_u64 s[6:7], s[6:7], s[16:17]
	s_mul_u64 s[2:3], s[18:19], s[14:15]
	s_wait_alu 0xfffe
	s_add_nc_u64 s[6:7], s[2:3], s[6:7]
	s_or_b32 s2, s9, vcc_lo
	s_wait_alu 0xfffe
	s_and_saveexec_b32 s3, s2
	s_cbranch_execz .LBB0_4
; %bb.3:
	v_mul_lo_u32 v1, s8, v41
	v_mov_b32_e32 v2, 0
	s_delay_alu instid0(VALU_DEP_2) | instskip(NEXT) | instid1(VALU_DEP_1)
	v_add3_u32 v1, s6, v73, v1
	v_lshlrev_b64_e32 v[1:2], 4, v[1:2]
	s_delay_alu instid0(VALU_DEP_1) | instskip(NEXT) | instid1(VALU_DEP_2)
	v_add_co_u32 v1, vcc_lo, s4, v1
	v_add_co_ci_u32_e32 v2, vcc_lo, s5, v2, vcc_lo
	global_load_b128 v[1:4], v[1:2], off
.LBB0_4:
	s_wait_alu 0xfffe
	s_or_b32 exec_lo, exec_lo, s3
	v_dual_mov_b32 v5, v7 :: v_dual_mov_b32 v6, v8
	s_and_saveexec_b32 s3, s2
	s_cbranch_execz .LBB0_6
; %bb.5:
	v_dual_mov_b32 v6, 0 :: v_dual_add_nc_u32 v5, 10, v41
	s_delay_alu instid0(VALU_DEP_1) | instskip(NEXT) | instid1(VALU_DEP_1)
	v_mul_lo_u32 v5, s8, v5
	v_add3_u32 v5, s6, v73, v5
	s_delay_alu instid0(VALU_DEP_1) | instskip(NEXT) | instid1(VALU_DEP_1)
	v_lshlrev_b64_e32 v[5:6], 4, v[5:6]
	v_add_co_u32 v5, vcc_lo, s4, v5
	s_wait_alu 0xfffd
	s_delay_alu instid0(VALU_DEP_2)
	v_add_co_ci_u32_e32 v6, vcc_lo, s5, v6, vcc_lo
	global_load_b128 v[5:8], v[5:6], off
.LBB0_6:
	s_wait_alu 0xfffe
	s_or_b32 exec_lo, exec_lo, s3
	v_mov_b32_e32 v15, 0
	v_mov_b32_e32 v16, 0
	s_delay_alu instid0(VALU_DEP_2) | instskip(NEXT) | instid1(VALU_DEP_2)
	v_mov_b32_e32 v11, v15
	v_dual_mov_b32 v9, v15 :: v_dual_mov_b32 v10, v16
	v_mov_b32_e32 v12, v16
	s_and_saveexec_b32 s3, s2
	s_cbranch_execz .LBB0_8
; %bb.7:
	v_dual_mov_b32 v10, 0 :: v_dual_add_nc_u32 v9, 20, v41
	s_delay_alu instid0(VALU_DEP_1) | instskip(NEXT) | instid1(VALU_DEP_1)
	v_mul_lo_u32 v9, s8, v9
	v_add3_u32 v9, s6, v73, v9
	s_delay_alu instid0(VALU_DEP_1) | instskip(NEXT) | instid1(VALU_DEP_1)
	v_lshlrev_b64_e32 v[9:10], 4, v[9:10]
	v_add_co_u32 v9, vcc_lo, s4, v9
	s_wait_alu 0xfffd
	s_delay_alu instid0(VALU_DEP_2)
	v_add_co_ci_u32_e32 v10, vcc_lo, s5, v10, vcc_lo
	global_load_b128 v[9:12], v[9:10], off
.LBB0_8:
	s_wait_alu 0xfffe
	s_or_b32 exec_lo, exec_lo, s3
	v_dual_mov_b32 v13, v15 :: v_dual_mov_b32 v14, v16
	s_and_saveexec_b32 s3, s2
	s_cbranch_execz .LBB0_10
; %bb.9:
	v_dual_mov_b32 v14, 0 :: v_dual_add_nc_u32 v13, 30, v41
	s_delay_alu instid0(VALU_DEP_1) | instskip(NEXT) | instid1(VALU_DEP_1)
	v_mul_lo_u32 v13, s8, v13
	v_add3_u32 v13, s6, v73, v13
	s_delay_alu instid0(VALU_DEP_1) | instskip(NEXT) | instid1(VALU_DEP_1)
	v_lshlrev_b64_e32 v[13:14], 4, v[13:14]
	v_add_co_u32 v13, vcc_lo, s4, v13
	s_wait_alu 0xfffd
	s_delay_alu instid0(VALU_DEP_2)
	v_add_co_ci_u32_e32 v14, vcc_lo, s5, v14, vcc_lo
	global_load_b128 v[13:16], v[13:14], off
.LBB0_10:
	s_wait_alu 0xfffe
	s_or_b32 exec_lo, exec_lo, s3
	v_mov_b32_e32 v19, 0
	v_mov_b32_e32 v20, 0
	s_delay_alu instid0(VALU_DEP_1)
	v_dual_mov_b32 v24, v20 :: v_dual_mov_b32 v23, v19
	v_dual_mov_b32 v22, v20 :: v_dual_mov_b32 v21, v19
	s_and_saveexec_b32 s3, s2
	s_cbranch_execz .LBB0_12
; %bb.11:
	v_dual_mov_b32 v18, 0 :: v_dual_add_nc_u32 v17, 40, v41
	s_delay_alu instid0(VALU_DEP_1) | instskip(NEXT) | instid1(VALU_DEP_1)
	v_mul_lo_u32 v17, s8, v17
	v_add3_u32 v17, s6, v73, v17
	s_delay_alu instid0(VALU_DEP_1) | instskip(NEXT) | instid1(VALU_DEP_1)
	v_lshlrev_b64_e32 v[17:18], 4, v[17:18]
	v_add_co_u32 v17, vcc_lo, s4, v17
	s_wait_alu 0xfffd
	s_delay_alu instid0(VALU_DEP_2)
	v_add_co_ci_u32_e32 v18, vcc_lo, s5, v18, vcc_lo
	global_load_b128 v[21:24], v[17:18], off
.LBB0_12:
	s_wait_alu 0xfffe
	s_or_b32 exec_lo, exec_lo, s3
	v_dual_mov_b32 v17, v19 :: v_dual_mov_b32 v18, v20
	s_and_saveexec_b32 s3, s2
	s_cbranch_execz .LBB0_14
; %bb.13:
	v_dual_mov_b32 v18, 0 :: v_dual_add_nc_u32 v17, 50, v41
	s_delay_alu instid0(VALU_DEP_1) | instskip(NEXT) | instid1(VALU_DEP_1)
	v_mul_lo_u32 v17, s8, v17
	v_add3_u32 v17, s6, v73, v17
	s_delay_alu instid0(VALU_DEP_1) | instskip(NEXT) | instid1(VALU_DEP_1)
	v_lshlrev_b64_e32 v[17:18], 4, v[17:18]
	v_add_co_u32 v17, vcc_lo, s4, v17
	s_wait_alu 0xfffd
	s_delay_alu instid0(VALU_DEP_2)
	v_add_co_ci_u32_e32 v18, vcc_lo, s5, v18, vcc_lo
	global_load_b128 v[17:20], v[17:18], off
.LBB0_14:
	s_wait_alu 0xfffe
	s_or_b32 exec_lo, exec_lo, s3
	v_mov_b32_e32 v27, 0
	v_mov_b32_e32 v28, 0
	s_delay_alu instid0(VALU_DEP_1)
	v_dual_mov_b32 v32, v28 :: v_dual_mov_b32 v31, v27
	v_dual_mov_b32 v30, v28 :: v_dual_mov_b32 v29, v27
	;; [unrolled: 40-line block ×3, first 2 shown]
	s_and_saveexec_b32 s3, s2
	s_cbranch_execz .LBB0_20
; %bb.19:
	v_or_b32_e32 v33, 0x50, v41
	v_mov_b32_e32 v34, 0
	s_delay_alu instid0(VALU_DEP_2) | instskip(NEXT) | instid1(VALU_DEP_1)
	v_mul_lo_u32 v33, s8, v33
	v_add3_u32 v33, s6, v73, v33
	s_delay_alu instid0(VALU_DEP_1) | instskip(NEXT) | instid1(VALU_DEP_1)
	v_lshlrev_b64_e32 v[33:34], 4, v[33:34]
	v_add_co_u32 v33, vcc_lo, s4, v33
	s_wait_alu 0xfffd
	s_delay_alu instid0(VALU_DEP_2)
	v_add_co_ci_u32_e32 v34, vcc_lo, s5, v34, vcc_lo
	global_load_b128 v[37:40], v[33:34], off
.LBB0_20:
	s_wait_alu 0xfffe
	s_or_b32 exec_lo, exec_lo, s3
	v_dual_mov_b32 v33, v35 :: v_dual_mov_b32 v34, v36
	s_and_saveexec_b32 s3, s2
	s_cbranch_execz .LBB0_22
; %bb.21:
	v_dual_mov_b32 v34, 0 :: v_dual_add_nc_u32 v33, 0x5a, v41
	s_delay_alu instid0(VALU_DEP_1) | instskip(NEXT) | instid1(VALU_DEP_1)
	v_mul_lo_u32 v33, s8, v33
	v_add3_u32 v33, s6, v73, v33
	s_delay_alu instid0(VALU_DEP_1) | instskip(NEXT) | instid1(VALU_DEP_1)
	v_lshlrev_b64_e32 v[33:34], 4, v[33:34]
	v_add_co_u32 v33, vcc_lo, s4, v33
	s_wait_alu 0xfffd
	s_delay_alu instid0(VALU_DEP_2)
	v_add_co_ci_u32_e32 v34, vcc_lo, s5, v34, vcc_lo
	global_load_b128 v[33:36], v[33:34], off
.LBB0_22:
	s_wait_alu 0xfffe
	s_or_b32 exec_lo, exec_lo, s3
	s_wait_loadcnt 0x0
	v_add_f64_e32 v[43:44], v[19:20], v[27:28]
	v_add_f64_e32 v[45:46], v[15:16], v[35:36]
	;; [unrolled: 1-line block ×4, first 2 shown]
	v_add_f64_e64 v[51:52], v[13:14], -v[33:34]
	v_add_f64_e64 v[53:54], v[17:18], -v[25:26]
	;; [unrolled: 1-line block ×3, first 2 shown]
	s_mov_b32 s14, 0x134454ff
	s_mov_b32 s15, 0xbfee6f0e
	;; [unrolled: 1-line block ×4, first 2 shown]
	v_add_f64_e32 v[57:58], v[21:22], v[29:30]
	v_add_f64_e32 v[59:60], v[9:10], v[37:38]
	;; [unrolled: 1-line block ×3, first 2 shown]
	v_add_f64_e64 v[65:66], v[15:16], -v[35:36]
	v_add_f64_e64 v[67:68], v[15:16], -v[19:20]
	;; [unrolled: 1-line block ×3, first 2 shown]
	v_add_f64_e32 v[63:64], v[11:12], v[39:40]
	v_add_f64_e64 v[71:72], v[19:20], -v[15:16]
	v_add_f64_e64 v[75:76], v[27:28], -v[35:36]
	;; [unrolled: 1-line block ×4, first 2 shown]
	s_mov_b32 s18, 0x4755a5e
	s_mov_b32 s19, 0xbfe2cf23
	;; [unrolled: 1-line block ×4, first 2 shown]
	v_add_f64_e32 v[87:88], v[1:2], v[9:10]
	v_add_f64_e32 v[91:92], v[3:4], v[11:12]
	v_add_f64_e64 v[89:90], v[11:12], -v[39:40]
	v_add_f64_e64 v[93:94], v[33:34], -v[25:26]
	;; [unrolled: 1-line block ×4, first 2 shown]
	s_mov_b32 s16, 0x372fe950
	s_mov_b32 s17, 0x3fd3c6ef
	;; [unrolled: 1-line block ×5, first 2 shown]
	s_wait_alu 0xfffe
	s_mov_b32 s22, s16
	v_fma_f64 v[43:44], v[43:44], -0.5, v[7:8]
	v_fma_f64 v[45:46], v[45:46], -0.5, v[7:8]
	;; [unrolled: 1-line block ×4, first 2 shown]
	v_add_f64_e32 v[5:6], v[5:6], v[13:14]
	v_add_f64_e32 v[7:8], v[7:8], v[15:16]
	v_add_f64_e64 v[13:14], v[13:14], -v[17:18]
	v_add_f64_e64 v[15:16], v[23:24], -v[31:32]
	s_mov_b32 s25, 0xbfe9e377
	s_mov_b32 s24, s20
	v_fma_f64 v[57:58], v[57:58], -0.5, v[1:2]
	v_fma_f64 v[1:2], v[59:60], -0.5, v[1:2]
	;; [unrolled: 1-line block ×3, first 2 shown]
	v_add_f64_e32 v[61:62], v[67:68], v[69:70]
	v_fma_f64 v[3:4], v[63:64], -0.5, v[3:4]
	v_add_f64_e32 v[63:64], v[71:72], v[75:76]
	v_add_f64_e64 v[75:76], v[9:10], -v[21:22]
	v_add_f64_e64 v[9:10], v[21:22], -v[9:10]
	v_add_f64_e32 v[21:22], v[87:88], v[21:22]
	v_fma_f64 v[79:80], v[51:52], s[10:11], v[43:44]
	v_fma_f64 v[81:82], v[53:54], s[14:15], v[45:46]
	;; [unrolled: 1-line block ×8, first 2 shown]
	v_add_f64_e32 v[5:6], v[5:6], v[17:18]
	v_add_f64_e32 v[7:8], v[7:8], v[19:20]
	;; [unrolled: 1-line block ×3, first 2 shown]
	v_fma_f64 v[17:18], v[89:90], s[14:15], v[57:58]
	v_fma_f64 v[19:20], v[89:90], s[10:11], v[57:58]
	;; [unrolled: 1-line block ×6, first 2 shown]
	v_add_f64_e32 v[21:22], v[21:22], v[29:30]
	v_fma_f64 v[69:70], v[53:54], s[12:13], v[79:80]
	v_fma_f64 v[71:72], v[51:52], s[12:13], v[81:82]
	;; [unrolled: 1-line block ×4, first 2 shown]
	v_add_f64_e32 v[51:52], v[77:78], v[83:84]
	v_fma_f64 v[53:54], v[65:66], s[18:19], v[85:86]
	v_add_f64_e64 v[79:80], v[11:12], -v[23:24]
	v_add_f64_e64 v[11:12], v[23:24], -v[11:12]
	v_add_f64_e32 v[23:24], v[91:92], v[23:24]
	v_add_f64_e64 v[77:78], v[37:38], -v[29:30]
	v_add_f64_e64 v[83:84], v[39:40], -v[31:32]
	v_fma_f64 v[67:68], v[55:56], s[18:19], v[67:68]
	v_fma_f64 v[49:50], v[55:56], s[12:13], v[49:50]
	v_add_f64_e64 v[81:82], v[29:30], -v[37:38]
	v_add_f64_e64 v[85:86], v[31:32], -v[39:40]
	v_fma_f64 v[91:92], v[97:98], s[14:15], v[3:4]
	v_fma_f64 v[47:48], v[65:66], s[12:13], v[47:48]
	;; [unrolled: 1-line block ×3, first 2 shown]
	v_add_f64_e32 v[5:6], v[5:6], v[25:26]
	v_add_f64_e32 v[7:8], v[7:8], v[27:28]
	v_fma_f64 v[17:18], v[15:16], s[18:19], v[17:18]
	v_fma_f64 v[15:16], v[15:16], s[12:13], v[19:20]
	;; [unrolled: 1-line block ×6, first 2 shown]
	v_add_f64_e32 v[21:22], v[21:22], v[37:38]
	v_fma_f64 v[55:56], v[61:62], s[16:17], v[69:70]
	v_fma_f64 v[65:66], v[63:64], s[16:17], v[71:72]
	;; [unrolled: 1-line block ×5, first 2 shown]
	v_add_f64_e32 v[23:24], v[23:24], v[31:32]
	v_add_f64_e32 v[61:62], v[75:76], v[77:78]
	;; [unrolled: 1-line block ×3, first 2 shown]
	v_fma_f64 v[31:32], v[13:14], s[16:17], v[67:68]
	v_fma_f64 v[13:14], v[13:14], s[16:17], v[49:50]
	v_add_f64_e32 v[9:10], v[9:10], v[81:82]
	v_add_f64_e32 v[11:12], v[11:12], v[85:86]
	v_fma_f64 v[29:30], v[95:96], s[12:13], v[91:92]
	v_fma_f64 v[47:48], v[51:52], s[16:17], v[47:48]
	;; [unrolled: 1-line block ×3, first 2 shown]
	v_add_f64_e32 v[5:6], v[5:6], v[33:34]
	v_add_f64_e32 v[7:8], v[7:8], v[35:36]
	v_mul_f64_e32 v[49:50], s[18:19], v[55:56]
	v_mul_f64_e32 v[55:56], s[20:21], v[55:56]
	;; [unrolled: 1-line block ×8, first 2 shown]
	v_add_f64_e32 v[23:24], v[23:24], v[39:40]
	v_fma_f64 v[33:34], v[61:62], s[16:17], v[17:18]
	v_fma_f64 v[35:36], v[61:62], s[16:17], v[15:16]
	;; [unrolled: 1-line block ×8, first 2 shown]
	v_add_f64_e32 v[1:2], v[21:22], v[5:6]
	v_add_f64_e64 v[5:6], v[21:22], -v[5:6]
	v_fma_f64 v[25:26], v[31:32], s[20:21], v[49:50]
	v_fma_f64 v[31:32], v[31:32], s[12:13], v[55:56]
	;; [unrolled: 1-line block ×8, first 2 shown]
	v_add_f64_e32 v[3:4], v[23:24], v[7:8]
	v_add_f64_e64 v[7:8], v[23:24], -v[7:8]
	v_add_f64_e32 v[9:10], v[33:34], v[25:26]
	v_add_f64_e32 v[11:12], v[61:62], v[31:32]
	;; [unrolled: 1-line block ×8, first 2 shown]
	v_add_f64_e64 v[25:26], v[33:34], -v[25:26]
	v_add_f64_e64 v[29:30], v[37:38], -v[27:28]
	;; [unrolled: 1-line block ×8, first 2 shown]
	v_mad_u32_u24 v37, 0xbe0, v41, 0
	s_delay_alu instid0(VALU_DEP_1)
	v_lshl_add_u32 v38, v42, 4, v37
	ds_store_b128 v38, v[1:4]
	ds_store_b128 v38, v[9:12] offset:304
	ds_store_b128 v38, v[13:16] offset:608
	;; [unrolled: 1-line block ×9, first 2 shown]
	global_wb scope:SCOPE_SE
	s_wait_dscnt 0x0
	s_barrier_signal -1
	s_barrier_wait -1
	global_inv scope:SCOPE_SE
	s_and_saveexec_b32 s3, s2
	s_cbranch_execz .LBB0_24
; %bb.23:
	v_mul_lo_u16 v1, v41, 26
	s_load_b128 s[0:3], s[0:1], 0x0
	v_mul_i32_i24_e32 v38, 0xfffff550, v41
	v_lshlrev_b32_e32 v39, 4, v42
	s_delay_alu instid0(VALU_DEP_3) | instskip(NEXT) | instid1(VALU_DEP_2)
	v_lshrrev_b16 v1, 8, v1
	v_add3_u32 v97, v37, v38, v39
	s_delay_alu instid0(VALU_DEP_2) | instskip(NEXT) | instid1(VALU_DEP_1)
	v_mul_lo_u16 v1, v1, 10
	v_sub_nc_u16 v1, v41, v1
	s_delay_alu instid0(VALU_DEP_1) | instskip(NEXT) | instid1(VALU_DEP_1)
	v_and_b32_e32 v95, 0xff, v1
	v_mul_u32_u24_e32 v1, 9, v95
	v_add_nc_u32_e32 v37, 0x5a, v95
	v_mul_lo_u32 v96, v74, v95
	v_or_b32_e32 v53, 0x50, v95
	s_delay_alu instid0(VALU_DEP_4) | instskip(NEXT) | instid1(VALU_DEP_4)
	v_lshlrev_b32_e32 v33, 4, v1
	v_mul_lo_u32 v98, v74, v37
	s_wait_kmcnt 0x0
	s_clause 0x8
	global_load_b128 v[9:12], v33, s[0:1] offset:16
	global_load_b128 v[29:32], v33, s[0:1] offset:112
	;; [unrolled: 1-line block ×8, first 2 shown]
	global_load_b128 v[33:36], v33, s[0:1]
	ds_load_b128 v[65:68], v97 offset:6080
	ds_load_b128 v[69:72], v97 offset:24320
	v_and_b32_e32 v37, 0xff, v96
	v_and_b32_e32 v45, 0xff, v98
	v_lshrrev_b32_e32 v38, 4, v96
	v_lshrrev_b32_e32 v46, 4, v98
	v_mul_lo_u32 v100, v74, v53
	v_lshlrev_b32_e32 v37, 4, v37
	v_lshlrev_b32_e32 v45, 4, v45
	v_and_b32_e32 v41, 0xff0, v38
	v_and_b32_e32 v49, 0xff0, v46
	s_clause 0x1
	global_load_b128 v[37:40], v37, s[2:3]
	global_load_b128 v[41:44], v41, s[2:3] offset:4096
	ds_load_b128 v[103:106], v97 offset:9120
	ds_load_b128 v[61:64], v97 offset:27360
	s_clause 0x1
	global_load_b128 v[45:48], v45, s[2:3]
	global_load_b128 v[49:52], v49, s[2:3] offset:4096
	ds_load_b128 v[81:84], v97 offset:12160
	ds_load_b128 v[91:94], v97 offset:15200
	;; [unrolled: 1-line block ×3, first 2 shown]
	v_add_nc_u32_e32 v53, 0x46, v95
	v_and_b32_e32 v54, 0xff, v100
	v_lshrrev_b32_e32 v55, 4, v100
	s_delay_alu instid0(VALU_DEP_3) | instskip(NEXT) | instid1(VALU_DEP_3)
	v_mul_lo_u32 v99, v74, v53
	v_lshlrev_b32_e32 v53, 4, v54
	s_delay_alu instid0(VALU_DEP_3)
	v_and_b32_e32 v57, 0xff0, v55
	s_clause 0x1
	global_load_b128 v[53:56], v53, s[2:3]
	global_load_b128 v[57:60], v57, s[2:3] offset:4096
	ds_load_b128 v[107:110], v97 offset:21280
	v_lshrrev_b32_e32 v101, 4, v99
	v_and_b32_e32 v77, 0xff, v99
	s_delay_alu instid0(VALU_DEP_1)
	v_lshlrev_b32_e32 v102, 4, v77
	s_wait_loadcnt_dscnt 0xe07
	v_mul_f64_e32 v[75:76], v[65:66], v[11:12]
	v_mul_f64_e32 v[11:12], v[67:68], v[11:12]
	s_wait_loadcnt_dscnt 0xd06
	v_mul_f64_e32 v[85:86], v[69:70], v[31:32]
	v_mul_f64_e32 v[31:32], v[71:72], v[31:32]
	;; [unrolled: 3-line block ×3, first 2 shown]
	s_wait_loadcnt_dscnt 0xb01
	v_mul_f64_e32 v[113:114], v[87:88], v[27:28]
	v_fma_f64 v[77:78], v[67:68], v[9:10], -v[75:76]
	v_fma_f64 v[79:80], v[65:66], v[9:10], v[11:12]
	v_add_nc_u32_e32 v65, 60, v95
	v_fma_f64 v[31:32], v[69:70], v[29:30], v[31:32]
	v_mul_f64_e32 v[69:70], v[89:90], v[27:28]
	v_and_b32_e32 v66, 0xff0, v101
	v_fma_f64 v[75:76], v[71:72], v[29:30], -v[85:86]
	v_mul_lo_u32 v101, v74, v65
	global_load_b128 v[9:12], v102, s[2:3]
	v_fma_f64 v[83:84], v[83:84], v[21:22], -v[111:112]
	global_load_b128 v[27:30], v66, s[2:3] offset:4096
	v_fma_f64 v[81:82], v[81:82], v[21:22], v[23:24]
	s_wait_loadcnt 0xc
	v_mul_f64_e32 v[111:112], v[93:94], v[19:20]
	v_mul_f64_e32 v[19:20], v[91:92], v[19:20]
	v_fma_f64 v[85:86], v[89:90], v[25:26], -v[113:114]
	v_and_b32_e32 v65, 0xff, v101
	v_lshrrev_b32_e32 v66, 4, v101
	s_delay_alu instid0(VALU_DEP_2) | instskip(NEXT) | instid1(VALU_DEP_2)
	v_lshlrev_b32_e32 v65, 4, v65
	v_and_b32_e32 v66, 0xff0, v66
	s_clause 0x1
	global_load_b128 v[21:24], v65, s[2:3]
	global_load_b128 v[65:68], v66, s[2:3] offset:4096
	v_fma_f64 v[25:26], v[87:88], v[25:26], v[69:70]
	v_add_nc_u32_e32 v69, 50, v95
	s_delay_alu instid0(VALU_DEP_1) | instskip(SKIP_4) | instid1(VALU_DEP_4)
	v_mul_lo_u32 v102, v74, v69
	v_fma_f64 v[87:88], v[91:92], v[17:18], v[111:112]
	v_fma_f64 v[91:92], v[93:94], v[17:18], -v[19:20]
	s_wait_loadcnt 0xc
	v_mul_f64_e32 v[111:112], v[105:106], v[7:8]
	v_and_b32_e32 v69, 0xff, v102
	v_lshrrev_b32_e32 v70, 4, v102
	s_delay_alu instid0(VALU_DEP_2) | instskip(NEXT) | instid1(VALU_DEP_2)
	v_lshlrev_b32_e32 v69, 4, v69
	v_and_b32_e32 v89, 0xff0, v70
	s_clause 0x1
	global_load_b128 v[69:72], v69, s[2:3]
	global_load_b128 v[17:20], v89, s[2:3] offset:4096
	s_wait_dscnt 0x0
	v_mul_f64_e32 v[89:90], v[109:110], v[15:16]
	v_mul_f64_e32 v[15:16], v[107:108], v[15:16]
	s_delay_alu instid0(VALU_DEP_2) | instskip(SKIP_1) | instid1(VALU_DEP_3)
	v_fma_f64 v[89:90], v[107:108], v[13:14], v[89:90]
	v_mul_f64_e32 v[107:108], v[103:104], v[7:8]
	v_fma_f64 v[93:94], v[109:110], v[13:14], -v[15:16]
	s_wait_loadcnt 0xd
	v_mul_f64_e32 v[109:110], v[63:64], v[3:4]
	v_mul_f64_e32 v[3:4], v[61:62], v[3:4]
	ds_load_b128 v[13:16], v97 offset:3040
	v_fma_f64 v[7:8], v[103:104], v[5:6], v[111:112]
	v_lshrrev_b32_e32 v111, 12, v98
	v_fma_f64 v[5:6], v[105:106], v[5:6], -v[107:108]
	ds_load_b128 v[103:106], v97
	s_wait_loadcnt_dscnt 0xc01
	v_mul_f64_e32 v[107:108], v[15:16], v[35:36]
	v_mul_f64_e32 v[35:36], v[13:14], v[35:36]
	s_wait_loadcnt 0xa
	v_mul_f64_e32 v[97:98], v[39:40], v[43:44]
	v_mul_f64_e32 v[43:44], v[37:38], v[43:44]
	v_fma_f64 v[61:62], v[61:62], v[1:2], v[109:110]
	v_fma_f64 v[63:64], v[63:64], v[1:2], -v[3:4]
	v_and_b32_e32 v2, 0xff0, v111
	s_wait_loadcnt 0x8
	v_mul_f64_e32 v[111:112], v[47:48], v[51:52]
	v_mul_f64_e32 v[51:52], v[45:46], v[51:52]
	v_lshrrev_b32_e32 v1, 12, v100
	s_delay_alu instid0(VALU_DEP_1)
	v_and_b32_e32 v100, 0xff0, v1
	global_load_b128 v[1:4], v2, s[2:3] offset:8192
	v_fma_f64 v[107:108], v[13:14], v[33:34], v[107:108]
	v_fma_f64 v[109:110], v[15:16], v[33:34], -v[35:36]
	global_load_b128 v[13:16], v100, s[2:3] offset:8192
	v_lshrrev_b32_e32 v33, 12, v99
	s_wait_loadcnt 0x8
	v_mul_f64_e32 v[99:100], v[55:56], v[59:60]
	v_fma_f64 v[97:98], v[37:38], v[41:42], -v[97:98]
	v_fma_f64 v[113:114], v[41:42], v[39:40], v[43:44]
	v_mul_f64_e32 v[41:42], v[53:54], v[59:60]
	v_fma_f64 v[59:60], v[45:46], v[49:50], -v[111:112]
	v_fma_f64 v[111:112], v[47:48], v[49:50], v[51:52]
	v_add_nc_u32_e32 v45, 40, v95
	v_lshrrev_b32_e32 v34, 12, v101
	v_and_b32_e32 v33, 0xff0, v33
	s_delay_alu instid0(VALU_DEP_3) | instskip(NEXT) | instid1(VALU_DEP_3)
	v_mul_lo_u32 v45, v74, v45
	v_and_b32_e32 v37, 0xff0, v34
	s_clause 0x1
	global_load_b128 v[33:36], v33, s[2:3] offset:8192
	global_load_b128 v[37:40], v37, s[2:3] offset:8192
	v_fma_f64 v[99:100], v[53:54], v[57:58], -v[99:100]
	v_fma_f64 v[57:58], v[55:56], v[57:58], v[41:42]
	v_and_b32_e32 v41, 0xff, v45
	v_lshrrev_b32_e32 v42, 4, v45
	s_delay_alu instid0(VALU_DEP_2) | instskip(NEXT) | instid1(VALU_DEP_2)
	v_lshlrev_b32_e32 v41, 4, v41
	v_and_b32_e32 v42, 0xff0, v42
	s_wait_loadcnt 0x8
	v_mul_f64_e32 v[43:44], v[11:12], v[29:30]
	v_mul_f64_e32 v[29:30], v[9:10], v[29:30]
	s_wait_loadcnt 0x6
	v_mul_f64_e32 v[49:50], v[23:24], v[67:68]
	v_mul_f64_e32 v[51:52], v[21:22], v[67:68]
	s_delay_alu instid0(VALU_DEP_4) | instskip(NEXT) | instid1(VALU_DEP_4)
	v_fma_f64 v[67:68], v[9:10], v[27:28], -v[43:44]
	v_fma_f64 v[115:116], v[11:12], v[27:28], v[29:30]
	s_clause 0x1
	global_load_b128 v[9:12], v41, s[2:3]
	global_load_b128 v[27:30], v42, s[2:3] offset:4096
	v_lshrrev_b32_e32 v41, 12, v102
	v_lshrrev_b32_e32 v42, 12, v45
	s_delay_alu instid0(VALU_DEP_2) | instskip(NEXT) | instid1(VALU_DEP_2)
	v_and_b32_e32 v41, 0xff0, v41
	v_and_b32_e32 v45, 0xff0, v42
	s_clause 0x1
	global_load_b128 v[41:44], v41, s[2:3] offset:8192
	global_load_b128 v[45:48], v45, s[2:3] offset:8192
	v_fma_f64 v[101:102], v[21:22], v[65:66], -v[49:50]
	v_fma_f64 v[65:66], v[23:24], v[65:66], v[51:52]
	v_add_nc_u32_e32 v23, 30, v95
	s_wait_loadcnt 0x8
	v_mul_f64_e32 v[21:22], v[71:72], v[19:20]
	v_mul_f64_e32 v[19:20], v[69:70], v[19:20]
	s_delay_alu instid0(VALU_DEP_3) | instskip(NEXT) | instid1(VALU_DEP_1)
	v_mul_lo_u32 v51, v74, v23
	v_lshrrev_b32_e32 v23, 4, v51
	v_and_b32_e32 v24, 0xff, v51
	s_delay_alu instid0(VALU_DEP_2) | instskip(NEXT) | instid1(VALU_DEP_2)
	v_and_b32_e32 v23, 0xff0, v23
	v_lshlrev_b32_e32 v24, 4, v24
	v_fma_f64 v[69:70], v[69:70], v[17:18], -v[21:22]
	v_fma_f64 v[71:72], v[71:72], v[17:18], v[19:20]
	s_clause 0x1
	global_load_b128 v[17:20], v23, s[2:3] offset:4096
	global_load_b128 v[21:24], v24, s[2:3]
	s_wait_loadcnt 0x4
	v_mul_f64_e32 v[49:50], v[11:12], v[29:30]
	v_mul_f64_e32 v[29:30], v[9:10], v[29:30]
	s_delay_alu instid0(VALU_DEP_2) | instskip(SKIP_1) | instid1(VALU_DEP_3)
	v_fma_f64 v[117:118], v[9:10], v[27:28], -v[49:50]
	v_add_nc_u32_e32 v9, 20, v95
	v_fma_f64 v[119:120], v[11:12], v[27:28], v[29:30]
	s_delay_alu instid0(VALU_DEP_2) | instskip(SKIP_1) | instid1(VALU_DEP_1)
	v_mul_lo_u32 v52, v74, v9
	v_lshrrev_b32_e32 v9, 12, v51
	v_and_b32_e32 v9, 0xff0, v9
	s_delay_alu instid0(VALU_DEP_3) | instskip(SKIP_3) | instid1(VALU_DEP_3)
	v_lshrrev_b32_e32 v10, 12, v52
	s_wait_loadcnt 0x0
	v_mul_f64_e32 v[49:50], v[23:24], v[19:20]
	v_mul_f64_e32 v[19:20], v[21:22], v[19:20]
	v_and_b32_e32 v27, 0xff0, v10
	s_clause 0x1
	global_load_b128 v[9:12], v9, s[2:3] offset:8192
	global_load_b128 v[27:30], v27, s[2:3] offset:8192
	v_fma_f64 v[121:122], v[21:22], v[17:18], -v[49:50]
	v_fma_f64 v[123:124], v[23:24], v[17:18], v[19:20]
	v_and_b32_e32 v17, 0xff, v52
	v_lshrrev_b32_e32 v18, 4, v52
	s_delay_alu instid0(VALU_DEP_2) | instskip(NEXT) | instid1(VALU_DEP_2)
	v_lshlrev_b32_e32 v17, 4, v17
	v_and_b32_e32 v21, 0xff0, v18
	s_clause 0x1
	global_load_b128 v[17:20], v17, s[2:3]
	global_load_b128 v[21:24], v21, s[2:3] offset:4096
	s_wait_loadcnt 0x0
	v_mul_f64_e32 v[49:50], v[19:20], v[23:24]
	s_delay_alu instid0(VALU_DEP_1) | instskip(SKIP_1) | instid1(VALU_DEP_1)
	v_fma_f64 v[125:126], v[17:18], v[21:22], -v[49:50]
	v_mul_f64_e32 v[17:18], v[17:18], v[23:24]
	v_fma_f64 v[127:128], v[19:20], v[21:22], v[17:18]
	v_add_nc_u32_e32 v17, 10, v95
	v_lshrrev_b32_e32 v20, 12, v96
	s_delay_alu instid0(VALU_DEP_2) | instskip(NEXT) | instid1(VALU_DEP_2)
	v_mul_lo_u32 v17, v74, v17
	v_and_b32_e32 v49, 0xff0, v20
	s_delay_alu instid0(VALU_DEP_2) | instskip(SKIP_2) | instid1(VALU_DEP_3)
	v_and_b32_e32 v18, 0xff, v17
	v_lshrrev_b32_e32 v19, 4, v17
	v_lshrrev_b32_e32 v17, 12, v17
	v_lshlrev_b32_e32 v18, 4, v18
	s_delay_alu instid0(VALU_DEP_3) | instskip(NEXT) | instid1(VALU_DEP_3)
	v_and_b32_e32 v21, 0xff0, v19
	v_and_b32_e32 v53, 0xff0, v17
	s_clause 0x3
	global_load_b128 v[17:20], v18, s[2:3]
	global_load_b128 v[21:24], v21, s[2:3] offset:4096
	global_load_b128 v[49:52], v49, s[2:3] offset:8192
	;; [unrolled: 1-line block ×3, first 2 shown]
	s_wait_loadcnt 0x2
	v_mul_f64_e32 v[129:130], v[19:20], v[23:24]
	s_delay_alu instid0(VALU_DEP_1) | instskip(SKIP_3) | instid1(VALU_DEP_3)
	v_fma_f64 v[129:130], v[17:18], v[21:22], -v[129:130]
	v_mul_f64_e32 v[17:18], v[17:18], v[23:24]
	v_mul_f64_e32 v[23:24], v[111:112], v[3:4]
	;; [unrolled: 1-line block ×3, first 2 shown]
	v_fma_f64 v[17:18], v[19:20], v[21:22], v[17:18]
	s_wait_loadcnt 0x1
	v_mul_f64_e32 v[19:20], v[51:52], v[113:114]
	v_mul_f64_e32 v[21:22], v[51:52], v[97:98]
	s_delay_alu instid0(VALU_DEP_2) | instskip(NEXT) | instid1(VALU_DEP_2)
	v_fma_f64 v[19:20], v[49:50], v[97:98], -v[19:20]
	v_fma_f64 v[21:22], v[49:50], v[113:114], v[21:22]
	v_fma_f64 v[49:50], v[1:2], v[59:60], -v[23:24]
	v_fma_f64 v[23:24], v[1:2], v[111:112], v[3:4]
	v_mul_f64_e32 v[1:2], v[57:58], v[15:16]
	v_mul_f64_e32 v[3:4], v[67:68], v[35:36]
	v_add_f64_e32 v[59:60], v[77:78], v[75:76]
	s_wait_dscnt 0x0
	v_add_f64_e32 v[96:97], v[105:106], v[77:78]
	v_add_f64_e64 v[111:112], v[25:26], -v[31:32]
	v_fma_f64 v[51:52], v[13:14], v[99:100], -v[1:2]
	v_mul_f64_e32 v[1:2], v[99:100], v[15:16]
	v_fma_f64 v[15:16], v[33:34], v[115:116], v[3:4]
	v_mul_f64_e32 v[3:4], v[101:102], v[39:40]
	v_add_f64_e32 v[98:99], v[103:104], v[79:80]
	v_fma_f64 v[59:60], v[59:60], -0.5, v[105:106]
	v_add_f64_e32 v[96:97], v[96:97], v[83:84]
	v_fma_f64 v[13:14], v[13:14], v[57:58], v[1:2]
	v_mul_f64_e32 v[1:2], v[115:116], v[35:36]
	v_mul_f64_e32 v[35:36], v[69:70], v[43:44]
	v_add_f64_e32 v[98:99], v[98:99], v[81:82]
	s_delay_alu instid0(VALU_DEP_3)
	v_fma_f64 v[57:58], v[33:34], v[67:68], -v[1:2]
	v_mul_f64_e32 v[1:2], v[65:66], v[39:40]
	v_mul_f64_e32 v[33:34], v[71:72], v[43:44]
	v_add_f64_e64 v[67:68], v[75:76], -v[85:86]
	v_fma_f64 v[35:36], v[41:42], v[71:72], v[35:36]
	v_add_f64_e64 v[71:72], v[5:6], -v[91:92]
	v_add_f64_e32 v[39:40], v[83:84], v[85:86]
	v_fma_f64 v[43:44], v[37:38], v[101:102], -v[1:2]
	v_mul_f64_e32 v[1:2], v[119:120], v[47:48]
	v_fma_f64 v[37:38], v[37:38], v[65:66], v[3:4]
	v_mul_f64_e32 v[3:4], v[117:118], v[47:48]
	v_fma_f64 v[33:34], v[41:42], v[69:70], -v[33:34]
	v_add_f64_e64 v[65:66], v[77:78], -v[83:84]
	v_add_f64_e64 v[100:101], v[63:64], -v[93:94]
	v_add_f64_e32 v[47:48], v[81:82], v[25:26]
	v_add_f64_e32 v[41:42], v[79:80], v[31:32]
	v_fma_f64 v[39:40], v[39:40], -0.5, v[105:106]
	v_fma_f64 v[69:70], v[45:46], v[117:118], -v[1:2]
	v_add_f64_e64 v[1:2], v[7:8], -v[87:88]
	v_fma_f64 v[45:46], v[45:46], v[119:120], v[3:4]
	v_add_f64_e64 v[3:4], v[61:62], -v[89:90]
	v_add_f64_e32 v[65:66], v[65:66], v[67:68]
	v_add_f64_e64 v[67:68], v[79:80], -v[81:82]
	v_add_f64_e32 v[71:72], v[71:72], v[100:101]
	v_add_f64_e64 v[100:101], v[83:84], -v[77:78]
	v_fma_f64 v[47:48], v[47:48], -0.5, v[103:104]
	v_fma_f64 v[41:42], v[41:42], -0.5, v[103:104]
	v_add_f64_e64 v[102:103], v[89:90], -v[61:62]
	v_add_f64_e64 v[104:105], v[93:94], -v[63:64]
	;; [unrolled: 1-line block ×4, first 2 shown]
	v_add_f64_e32 v[1:2], v[1:2], v[3:4]
	v_add_f64_e64 v[3:4], v[31:32], -v[25:26]
	s_delay_alu instid0(VALU_DEP_1) | instskip(SKIP_3) | instid1(VALU_DEP_3)
	v_add_f64_e32 v[3:4], v[67:68], v[3:4]
	v_add_f64_e64 v[67:68], v[85:86], -v[75:76]
	v_add_f64_e32 v[85:86], v[96:97], v[85:86]
	v_add_f64_e32 v[96:97], v[91:92], v[93:94]
	;; [unrolled: 1-line block ×3, first 2 shown]
	v_add_f64_e64 v[100:101], v[87:88], -v[7:8]
	s_delay_alu instid0(VALU_DEP_3) | instskip(SKIP_2) | instid1(VALU_DEP_4)
	v_fma_f64 v[96:97], v[96:97], -0.5, v[109:110]
	v_add_f64_e32 v[74:75], v[85:86], v[75:76]
	v_and_b32_e32 v76, 0xffff, v0
	v_add_f64_e32 v[100:101], v[100:101], v[102:103]
	v_add_f64_e64 v[102:103], v[91:92], -v[5:6]
	s_delay_alu instid0(VALU_DEP_1)
	v_add_f64_e32 v[102:103], v[102:103], v[104:105]
	v_add_f64_e64 v[104:105], v[81:82], -v[79:80]
	v_add_f64_e64 v[81:82], v[81:82], -v[25:26]
	v_add_f64_e32 v[25:26], v[98:99], v[25:26]
	v_add_f64_e32 v[98:99], v[87:88], v[89:90]
	v_add_f64_e64 v[79:80], v[79:80], -v[31:32]
	v_add_f64_e32 v[104:105], v[104:105], v[111:112]
	v_add_f64_e32 v[111:112], v[5:6], v[63:64]
	;; [unrolled: 1-line block ×3, first 2 shown]
	v_fma_f64 v[98:99], v[98:99], -0.5, v[107:108]
	v_fma_f64 v[113:114], v[79:80], s[14:15], v[39:40]
	v_fma_f64 v[39:40], v[79:80], s[10:11], v[39:40]
	v_fma_f64 v[111:112], v[111:112], -0.5, v[109:110]
	v_add_f64_e32 v[109:110], v[109:110], v[5:6]
	v_add_f64_e64 v[5:6], v[5:6], -v[63:64]
	s_delay_alu instid0(VALU_DEP_4) | instskip(NEXT) | instid1(VALU_DEP_3)
	v_fma_f64 v[39:40], v[81:82], s[12:13], v[39:40]
	v_add_f64_e32 v[109:110], v[109:110], v[91:92]
	v_add_f64_e64 v[91:92], v[91:92], -v[93:94]
	s_delay_alu instid0(VALU_DEP_3) | instskip(NEXT) | instid1(VALU_DEP_3)
	v_fma_f64 v[39:40], v[65:66], s[16:17], v[39:40]
	v_add_f64_e32 v[93:94], v[109:110], v[93:94]
	v_add_f64_e32 v[109:110], v[7:8], v[61:62]
	s_delay_alu instid0(VALU_DEP_2) | instskip(NEXT) | instid1(VALU_DEP_2)
	v_add_f64_e32 v[63:64], v[93:94], v[63:64]
	v_fma_f64 v[109:110], v[109:110], -0.5, v[107:108]
	v_add_f64_e32 v[106:107], v[107:108], v[7:8]
	v_add_f64_e64 v[7:8], v[7:8], -v[61:62]
	s_delay_alu instid0(VALU_DEP_2) | instskip(SKIP_1) | instid1(VALU_DEP_3)
	v_add_f64_e32 v[106:107], v[106:107], v[87:88]
	v_add_f64_e64 v[87:88], v[87:88], -v[89:90]
	v_fma_f64 v[115:116], v[7:8], s[14:15], v[96:97]
	v_fma_f64 v[96:97], v[7:8], s[10:11], v[96:97]
	s_delay_alu instid0(VALU_DEP_4) | instskip(SKIP_3) | instid1(VALU_DEP_4)
	v_add_f64_e32 v[89:90], v[106:107], v[89:90]
	v_fma_f64 v[106:107], v[81:82], s[10:11], v[59:60]
	v_fma_f64 v[59:60], v[81:82], s[14:15], v[59:60]
	;; [unrolled: 1-line block ×3, first 2 shown]
	v_add_f64_e32 v[31:32], v[89:90], v[61:62]
	s_delay_alu instid0(VALU_DEP_4) | instskip(NEXT) | instid1(VALU_DEP_4)
	v_fma_f64 v[106:107], v[79:80], s[18:19], v[106:107]
	v_fma_f64 v[59:60], v[79:80], s[12:13], v[59:60]
	v_fma_f64 v[79:80], v[87:88], s[10:11], v[111:112]
	v_fma_f64 v[111:112], v[87:88], s[14:15], v[111:112]
	v_fma_f64 v[65:66], v[65:66], s[16:17], v[81:82]
	s_delay_alu instid0(VALU_DEP_4) | instskip(NEXT) | instid1(VALU_DEP_4)
	v_fma_f64 v[59:60], v[67:68], s[16:17], v[59:60]
	v_fma_f64 v[79:80], v[7:8], s[18:19], v[79:80]
	s_delay_alu instid0(VALU_DEP_4)
	v_fma_f64 v[7:8], v[7:8], s[12:13], v[111:112]
	v_fma_f64 v[111:112], v[87:88], s[18:19], v[115:116]
	;; [unrolled: 1-line block ×19, first 2 shown]
	v_mul_f64_e32 v[93:94], s[14:15], v[79:80]
	v_mul_f64_e32 v[89:90], s[16:17], v[7:8]
	;; [unrolled: 1-line block ×3, first 2 shown]
	v_fma_f64 v[47:48], v[83:84], s[18:19], v[47:48]
	v_mul_f64_e32 v[79:80], s[22:23], v[79:80]
	v_fma_f64 v[5:6], v[100:101], s[16:17], v[5:6]
	v_fma_f64 v[61:62], v[1:2], s[16:17], v[91:92]
	;; [unrolled: 1-line block ×3, first 2 shown]
	v_mul_f64_e32 v[85:86], s[18:19], v[98:99]
	v_fma_f64 v[87:88], v[77:78], s[12:13], v[87:88]
	v_fma_f64 v[41:42], v[77:78], s[18:19], v[41:42]
	;; [unrolled: 1-line block ×3, first 2 shown]
	v_mul_f64_e32 v[83:84], s[18:19], v[71:72]
	v_mul_f64_e32 v[71:72], s[20:21], v[71:72]
	v_fma_f64 v[91:92], v[100:101], s[16:17], v[96:97]
	v_mul_f64_e32 v[96:97], s[24:25], v[98:99]
	v_mul_u32_u24_e32 v2, 0x159, v76
	v_mul_f64_e32 v[98:99], v[123:124], v[11:12]
	s_wait_loadcnt 0x0
	v_mul_f64_e32 v[102:103], v[129:130], v[55:56]
	v_fma_f64 v[100:101], v[67:68], s[16:17], v[106:107]
	v_mul_f64_e32 v[67:68], v[125:126], v[29:30]
	v_lshrrev_b32_e32 v2, 16, v2
	v_mul_f64_e32 v[11:12], v[121:122], v[11:12]
	v_mul_f64_e32 v[29:30], v[127:128], v[29:30]
	v_mul_f64_e32 v[55:56], v[17:18], v[55:56]
	s_delay_alu instid0(VALU_DEP_4) | instskip(SKIP_1) | instid1(VALU_DEP_2)
	v_mul_lo_u16 v76, 0x64, v2
	v_add_nc_u32_e32 v2, s6, v73
	v_and_b32_e32 v73, 0xffff, v76
	s_delay_alu instid0(VALU_DEP_1) | instskip(NEXT) | instid1(VALU_DEP_1)
	v_add_nc_u32_e32 v73, v95, v73
	v_add_nc_u32_e32 v95, 10, v73
	v_fma_f64 v[89:90], v[5:6], s[10:11], v[89:90]
	v_fma_f64 v[5:6], v[5:6], s[16:17], v[7:8]
	v_add_nc_u32_e32 v106, 40, v73
	v_add_nc_u32_e32 v107, 50, v73
	v_fma_f64 v[85:86], v[0:1], s[24:25], v[85:86]
	v_fma_f64 v[87:88], v[104:105], s[16:17], v[87:88]
	;; [unrolled: 1-line block ×5, first 2 shown]
	v_add_f64_e64 v[47:48], v[25:26], -v[31:32]
	v_fma_f64 v[83:84], v[61:62], s[20:21], v[83:84]
	v_fma_f64 v[61:62], v[61:62], s[12:13], v[71:72]
	v_add_f64_e64 v[71:72], v[74:75], -v[63:64]
	v_fma_f64 v[93:94], v[91:92], s[22:23], v[93:94]
	v_fma_f64 v[78:79], v[91:92], s[10:11], v[79:80]
	;; [unrolled: 1-line block ×3, first 2 shown]
	v_add_nc_u32_e32 v104, 30, v73
	v_add_f64_e32 v[63:64], v[74:75], v[63:64]
	v_add_f64_e32 v[25:26], v[25:26], v[31:32]
	v_add_nc_u32_e32 v82, 20, v73
	v_add_nc_u32_e32 v108, 60, v73
	;; [unrolled: 1-line block ×3, first 2 shown]
	v_fma_f64 v[80:81], v[9:10], v[121:122], -v[98:99]
	v_add_nc_u32_e32 v110, 0x50, v73
	v_add_nc_u32_e32 v112, 0x5a, v73
	v_fma_f64 v[17:18], v[53:54], v[17:18], v[102:103]
	v_fma_f64 v[67:68], v[27:28], v[127:128], v[67:68]
	v_fma_f64 v[9:10], v[9:10], v[123:124], v[11:12]
	v_fma_f64 v[27:28], v[27:28], v[125:126], -v[29:30]
	v_fma_f64 v[29:30], v[53:54], v[129:130], -v[55:56]
	v_add_f64_e64 v[102:103], v[76:77], -v[85:86]
	v_mad_co_u64_u32 v[7:8], null, s8, v73, v[2:3]
	v_mul_f64_e32 v[31:32], v[47:48], v[35:36]
	v_add_f64_e32 v[73:74], v[3:4], v[83:84]
	v_add_f64_e32 v[97:98], v[39:40], v[61:62]
	v_mul_f64_e32 v[35:36], v[71:72], v[35:36]
	v_add_f64_e32 v[75:76], v[76:77], v[85:86]
	v_add_f64_e64 v[85:86], v[59:60], -v[89:90]
	v_add_f64_e32 v[59:60], v[59:60], v[89:90]
	v_add_f64_e32 v[89:90], v[41:42], v[5:6]
	v_mad_co_u64_u32 v[91:92], null, s8, v95, v[2:3]
	v_mad_co_u64_u32 v[95:96], null, s8, v104, v[2:3]
	v_add_f64_e64 v[104:105], v[87:88], -v[93:94]
	v_add_f64_e32 v[87:88], v[87:88], v[93:94]
	v_add_f64_e64 v[39:40], v[39:40], -v[61:62]
	v_add_f64_e32 v[61:62], v[100:101], v[78:79]
	v_add_f64_e64 v[41:42], v[41:42], -v[5:6]
	v_mad_co_u64_u32 v[5:6], null, s8, v106, v[2:3]
	v_mad_co_u64_u32 v[93:94], null, s8, v107, v[2:3]
	v_add_f64_e32 v[106:107], v[65:66], v[0:1]
	v_mad_co_u64_u32 v[11:12], null, s8, v82, v[2:3]
	v_add_f64_e64 v[82:83], v[3:4], -v[83:84]
	v_add_f64_e64 v[77:78], v[100:101], -v[78:79]
	;; [unrolled: 1-line block ×3, first 2 shown]
	v_mul_f64_e32 v[53:54], v[25:26], v[21:22]
	v_mul_f64_e32 v[21:22], v[63:64], v[21:22]
	v_mad_co_u64_u32 v[99:100], null, s8, v108, v[2:3]
	v_mad_co_u64_u32 v[108:109], null, s8, v109, v[2:3]
	;; [unrolled: 1-line block ×4, first 2 shown]
	v_mov_b32_e32 v8, 0
	v_fma_f64 v[2:3], v[71:72], v[33:34], -v[31:32]
	v_mul_f64_e32 v[31:32], v[17:18], v[73:74]
	v_mul_f64_e32 v[17:18], v[17:18], v[97:98]
	v_fma_f64 v[0:1], v[47:48], v[33:34], v[35:36]
	v_mul_f64_e32 v[71:72], v[75:76], v[45:46]
	v_mul_f64_e32 v[122:123], v[85:86], v[15:16]
	;; [unrolled: 1-line block ×5, first 2 shown]
	v_mov_b32_e32 v92, v8
	v_mov_b32_e32 v12, v8
	;; [unrolled: 1-line block ×3, first 2 shown]
	v_mul_f64_e32 v[55:56], v[104:105], v[13:14]
	v_mul_f64_e32 v[114:115], v[87:88], v[9:10]
	;; [unrolled: 1-line block ×5, first 2 shown]
	v_mov_b32_e32 v6, v8
	v_mov_b32_e32 v94, v8
	v_dual_mov_b32 v100, v8 :: v_dual_mov_b32 v109, v8
	v_mul_f64_e32 v[45:46], v[106:107], v[45:46]
	v_mov_b32_e32 v111, v8
	v_mov_b32_e32 v113, v8
	v_mul_f64_e32 v[118:119], v[82:83], v[37:38]
	v_mul_f64_e32 v[124:125], v[77:78], v[13:14]
	;; [unrolled: 1-line block ×3, first 2 shown]
	v_lshlrev_b64_e32 v[7:8], 4, v[7:8]
	v_lshlrev_b64_e32 v[91:92], 4, v[91:92]
	;; [unrolled: 1-line block ×4, first 2 shown]
	v_fma_f64 v[4:5], v[25:26], v[19:20], v[21:22]
	v_lshlrev_b64_e32 v[95:96], 4, v[95:96]
	v_add_co_u32 v130, vcc_lo, s4, v7
	s_wait_alu 0xfffd
	v_add_co_ci_u32_e32 v131, vcc_lo, s5, v8, vcc_lo
	v_add_co_u32 v91, vcc_lo, s4, v91
	s_wait_alu 0xfffd
	v_add_co_ci_u32_e32 v92, vcc_lo, s5, v92, vcc_lo
	v_add_co_u32 v132, vcc_lo, s4, v9
	v_fma_f64 v[6:7], v[63:64], v[19:20], -v[53:54]
	s_wait_alu 0xfffd
	v_add_co_ci_u32_e32 v133, vcc_lo, s5, v10, vcc_lo
	v_fma_f64 v[10:11], v[29:30], v[97:98], -v[31:32]
	v_fma_f64 v[8:9], v[29:30], v[73:74], v[17:18]
	v_fma_f64 v[14:15], v[59:60], v[27:28], -v[33:34]
	v_fma_f64 v[12:13], v[89:90], v[27:28], v[35:36]
	v_fma_f64 v[30:31], v[106:107], v[69:70], -v[71:72]
	v_fma_f64 v[34:35], v[61:62], v[80:81], -v[114:115]
	v_fma_f64 v[36:37], v[82:83], v[43:44], v[120:121]
	v_fma_f64 v[32:33], v[87:88], v[80:81], v[116:117]
	v_fma_f64 v[26:27], v[85:86], v[57:58], -v[67:68]
	v_fma_f64 v[24:25], v[41:42], v[57:58], v[122:123]
	v_fma_f64 v[22:23], v[77:78], v[51:52], -v[55:56]
	v_fma_f64 v[18:19], v[65:66], v[49:50], -v[47:48]
	v_lshlrev_b64_e32 v[93:94], 4, v[93:94]
	v_fma_f64 v[28:29], v[75:76], v[69:70], v[45:46]
	v_lshlrev_b64_e32 v[99:100], 4, v[99:100]
	v_lshlrev_b64_e32 v[108:109], 4, v[108:109]
	v_fma_f64 v[38:39], v[39:40], v[43:44], -v[118:119]
	v_fma_f64 v[20:21], v[104:105], v[51:52], v[124:125]
	v_fma_f64 v[16:17], v[102:103], v[49:50], v[126:127]
	v_add_co_u32 v40, vcc_lo, s4, v95
	s_wait_alu 0xfffd
	v_add_co_ci_u32_e32 v41, vcc_lo, s5, v96, vcc_lo
	v_add_co_u32 v42, vcc_lo, s4, v128
	s_wait_alu 0xfffd
	v_add_co_ci_u32_e32 v43, vcc_lo, s5, v129, vcc_lo
	;; [unrolled: 3-line block ×3, first 2 shown]
	v_lshlrev_b64_e32 v[110:111], 4, v[110:111]
	v_add_co_u32 v46, vcc_lo, s4, v99
	s_wait_alu 0xfffd
	v_add_co_ci_u32_e32 v47, vcc_lo, s5, v100, vcc_lo
	v_lshlrev_b64_e32 v[112:113], 4, v[112:113]
	v_add_co_u32 v48, vcc_lo, s4, v108
	s_wait_alu 0xfffd
	v_add_co_ci_u32_e32 v49, vcc_lo, s5, v109, vcc_lo
	v_add_co_u32 v50, vcc_lo, s4, v110
	s_wait_alu 0xfffd
	v_add_co_ci_u32_e32 v51, vcc_lo, s5, v111, vcc_lo
	;; [unrolled: 3-line block ×3, first 2 shown]
	s_clause 0x9
	global_store_b128 v[130:131], v[4:7], off
	global_store_b128 v[91:92], v[8:11], off
	;; [unrolled: 1-line block ×10, first 2 shown]
.LBB0_24:
	s_nop 0
	s_sendmsg sendmsg(MSG_DEALLOC_VGPRS)
	s_endpgm
	.section	.rodata,"a",@progbits
	.p2align	6, 0x0
	.amdhsa_kernel fft_rtc_back_len100_factors_10_10_wgs_190_tpt_10_dim2_dp_ip_CI_sbcc_twdbase8_3step_dirReg_intrinsicReadWrite
		.amdhsa_group_segment_fixed_size 0
		.amdhsa_private_segment_fixed_size 0
		.amdhsa_kernarg_size 88
		.amdhsa_user_sgpr_count 2
		.amdhsa_user_sgpr_dispatch_ptr 0
		.amdhsa_user_sgpr_queue_ptr 0
		.amdhsa_user_sgpr_kernarg_segment_ptr 1
		.amdhsa_user_sgpr_dispatch_id 0
		.amdhsa_user_sgpr_private_segment_size 0
		.amdhsa_wavefront_size32 1
		.amdhsa_uses_dynamic_stack 0
		.amdhsa_enable_private_segment 0
		.amdhsa_system_sgpr_workgroup_id_x 1
		.amdhsa_system_sgpr_workgroup_id_y 0
		.amdhsa_system_sgpr_workgroup_id_z 0
		.amdhsa_system_sgpr_workgroup_info 0
		.amdhsa_system_vgpr_workitem_id 0
		.amdhsa_next_free_vgpr 134
		.amdhsa_next_free_sgpr 26
		.amdhsa_reserve_vcc 1
		.amdhsa_float_round_mode_32 0
		.amdhsa_float_round_mode_16_64 0
		.amdhsa_float_denorm_mode_32 3
		.amdhsa_float_denorm_mode_16_64 3
		.amdhsa_fp16_overflow 0
		.amdhsa_workgroup_processor_mode 1
		.amdhsa_memory_ordered 1
		.amdhsa_forward_progress 0
		.amdhsa_round_robin_scheduling 0
		.amdhsa_exception_fp_ieee_invalid_op 0
		.amdhsa_exception_fp_denorm_src 0
		.amdhsa_exception_fp_ieee_div_zero 0
		.amdhsa_exception_fp_ieee_overflow 0
		.amdhsa_exception_fp_ieee_underflow 0
		.amdhsa_exception_fp_ieee_inexact 0
		.amdhsa_exception_int_div_zero 0
	.end_amdhsa_kernel
	.text
.Lfunc_end0:
	.size	fft_rtc_back_len100_factors_10_10_wgs_190_tpt_10_dim2_dp_ip_CI_sbcc_twdbase8_3step_dirReg_intrinsicReadWrite, .Lfunc_end0-fft_rtc_back_len100_factors_10_10_wgs_190_tpt_10_dim2_dp_ip_CI_sbcc_twdbase8_3step_dirReg_intrinsicReadWrite
                                        ; -- End function
	.section	.AMDGPU.csdata,"",@progbits
; Kernel info:
; codeLenInByte = 6860
; NumSgprs: 28
; NumVgprs: 134
; ScratchSize: 0
; MemoryBound: 0
; FloatMode: 240
; IeeeMode: 1
; LDSByteSize: 0 bytes/workgroup (compile time only)
; SGPRBlocks: 3
; VGPRBlocks: 16
; NumSGPRsForWavesPerEU: 28
; NumVGPRsForWavesPerEU: 134
; Occupancy: 10
; WaveLimiterHint : 1
; COMPUTE_PGM_RSRC2:SCRATCH_EN: 0
; COMPUTE_PGM_RSRC2:USER_SGPR: 2
; COMPUTE_PGM_RSRC2:TRAP_HANDLER: 0
; COMPUTE_PGM_RSRC2:TGID_X_EN: 1
; COMPUTE_PGM_RSRC2:TGID_Y_EN: 0
; COMPUTE_PGM_RSRC2:TGID_Z_EN: 0
; COMPUTE_PGM_RSRC2:TIDIG_COMP_CNT: 0
	.text
	.p2alignl 7, 3214868480
	.fill 96, 4, 3214868480
	.type	__hip_cuid_1067b5fcec2b1c9,@object ; @__hip_cuid_1067b5fcec2b1c9
	.section	.bss,"aw",@nobits
	.globl	__hip_cuid_1067b5fcec2b1c9
__hip_cuid_1067b5fcec2b1c9:
	.byte	0                               ; 0x0
	.size	__hip_cuid_1067b5fcec2b1c9, 1

	.ident	"AMD clang version 19.0.0git (https://github.com/RadeonOpenCompute/llvm-project roc-6.4.0 25133 c7fe45cf4b819c5991fe208aaa96edf142730f1d)"
	.section	".note.GNU-stack","",@progbits
	.addrsig
	.addrsig_sym __hip_cuid_1067b5fcec2b1c9
	.amdgpu_metadata
---
amdhsa.kernels:
  - .args:
      - .actual_access:  read_only
        .address_space:  global
        .offset:         0
        .size:           8
        .value_kind:     global_buffer
      - .address_space:  global
        .offset:         8
        .size:           8
        .value_kind:     global_buffer
      - .actual_access:  read_only
        .address_space:  global
        .offset:         16
        .size:           8
        .value_kind:     global_buffer
      - .actual_access:  read_only
        .address_space:  global
        .offset:         24
        .size:           8
        .value_kind:     global_buffer
      - .offset:         32
        .size:           8
        .value_kind:     by_value
      - .actual_access:  read_only
        .address_space:  global
        .offset:         40
        .size:           8
        .value_kind:     global_buffer
      - .actual_access:  read_only
        .address_space:  global
        .offset:         48
        .size:           8
        .value_kind:     global_buffer
      - .offset:         56
        .size:           4
        .value_kind:     by_value
      - .actual_access:  read_only
        .address_space:  global
        .offset:         64
        .size:           8
        .value_kind:     global_buffer
      - .actual_access:  read_only
        .address_space:  global
        .offset:         72
        .size:           8
        .value_kind:     global_buffer
      - .address_space:  global
        .offset:         80
        .size:           8
        .value_kind:     global_buffer
    .group_segment_fixed_size: 0
    .kernarg_segment_align: 8
    .kernarg_segment_size: 88
    .language:       OpenCL C
    .language_version:
      - 2
      - 0
    .max_flat_workgroup_size: 190
    .name:           fft_rtc_back_len100_factors_10_10_wgs_190_tpt_10_dim2_dp_ip_CI_sbcc_twdbase8_3step_dirReg_intrinsicReadWrite
    .private_segment_fixed_size: 0
    .sgpr_count:     28
    .sgpr_spill_count: 0
    .symbol:         fft_rtc_back_len100_factors_10_10_wgs_190_tpt_10_dim2_dp_ip_CI_sbcc_twdbase8_3step_dirReg_intrinsicReadWrite.kd
    .uniform_work_group_size: 1
    .uses_dynamic_stack: false
    .vgpr_count:     134
    .vgpr_spill_count: 0
    .wavefront_size: 32
    .workgroup_processor_mode: 1
amdhsa.target:   amdgcn-amd-amdhsa--gfx1201
amdhsa.version:
  - 1
  - 2
...

	.end_amdgpu_metadata
